;; amdgpu-corpus repo=ROCm/rocFFT kind=compiled arch=gfx906 opt=O3
	.text
	.amdgcn_target "amdgcn-amd-amdhsa--gfx906"
	.amdhsa_code_object_version 6
	.protected	fft_rtc_back_len1144_factors_13_11_8_wgs_104_tpt_104_sp_op_CI_CI_unitstride_sbrr_R2C_dirReg ; -- Begin function fft_rtc_back_len1144_factors_13_11_8_wgs_104_tpt_104_sp_op_CI_CI_unitstride_sbrr_R2C_dirReg
	.globl	fft_rtc_back_len1144_factors_13_11_8_wgs_104_tpt_104_sp_op_CI_CI_unitstride_sbrr_R2C_dirReg
	.p2align	8
	.type	fft_rtc_back_len1144_factors_13_11_8_wgs_104_tpt_104_sp_op_CI_CI_unitstride_sbrr_R2C_dirReg,@function
fft_rtc_back_len1144_factors_13_11_8_wgs_104_tpt_104_sp_op_CI_CI_unitstride_sbrr_R2C_dirReg: ; @fft_rtc_back_len1144_factors_13_11_8_wgs_104_tpt_104_sp_op_CI_CI_unitstride_sbrr_R2C_dirReg
; %bb.0:
	s_load_dwordx4 s[8:11], s[4:5], 0x58
	s_load_dwordx4 s[12:15], s[4:5], 0x0
	;; [unrolled: 1-line block ×3, first 2 shown]
	v_mul_u32_u24_e32 v1, 0x277, v0
	v_add_u32_sdwa v5, s6, v1 dst_sel:DWORD dst_unused:UNUSED_PAD src0_sel:DWORD src1_sel:WORD_1
	v_mov_b32_e32 v3, 0
	s_waitcnt lgkmcnt(0)
	v_cmp_lt_u64_e64 s[0:1], s[14:15], 2
	v_mov_b32_e32 v1, 0
	v_mov_b32_e32 v6, v3
	s_and_b64 vcc, exec, s[0:1]
	v_mov_b32_e32 v2, 0
	s_cbranch_vccnz .LBB0_8
; %bb.1:
	s_load_dwordx2 s[0:1], s[4:5], 0x10
	s_add_u32 s2, s18, 8
	s_addc_u32 s3, s19, 0
	s_add_u32 s6, s16, 8
	v_mov_b32_e32 v1, 0
	s_addc_u32 s7, s17, 0
	v_mov_b32_e32 v2, 0
	s_waitcnt lgkmcnt(0)
	s_add_u32 s20, s0, 8
	v_mov_b32_e32 v33, v2
	s_addc_u32 s21, s1, 0
	s_mov_b64 s[22:23], 1
	v_mov_b32_e32 v32, v1
.LBB0_2:                                ; =>This Inner Loop Header: Depth=1
	s_load_dwordx2 s[24:25], s[20:21], 0x0
                                        ; implicit-def: $vgpr34_vgpr35
	s_waitcnt lgkmcnt(0)
	v_or_b32_e32 v4, s25, v6
	v_cmp_ne_u64_e32 vcc, 0, v[3:4]
	s_and_saveexec_b64 s[0:1], vcc
	s_xor_b64 s[26:27], exec, s[0:1]
	s_cbranch_execz .LBB0_4
; %bb.3:                                ;   in Loop: Header=BB0_2 Depth=1
	v_cvt_f32_u32_e32 v4, s24
	v_cvt_f32_u32_e32 v7, s25
	s_sub_u32 s0, 0, s24
	s_subb_u32 s1, 0, s25
	v_mac_f32_e32 v4, 0x4f800000, v7
	v_rcp_f32_e32 v4, v4
	v_mul_f32_e32 v4, 0x5f7ffffc, v4
	v_mul_f32_e32 v7, 0x2f800000, v4
	v_trunc_f32_e32 v7, v7
	v_mac_f32_e32 v4, 0xcf800000, v7
	v_cvt_u32_f32_e32 v7, v7
	v_cvt_u32_f32_e32 v4, v4
	v_mul_lo_u32 v8, s0, v7
	v_mul_hi_u32 v9, s0, v4
	v_mul_lo_u32 v11, s1, v4
	v_mul_lo_u32 v10, s0, v4
	v_add_u32_e32 v8, v9, v8
	v_add_u32_e32 v8, v8, v11
	v_mul_hi_u32 v9, v4, v10
	v_mul_lo_u32 v11, v4, v8
	v_mul_hi_u32 v13, v4, v8
	v_mul_hi_u32 v12, v7, v10
	v_mul_lo_u32 v10, v7, v10
	v_mul_hi_u32 v14, v7, v8
	v_add_co_u32_e32 v9, vcc, v9, v11
	v_addc_co_u32_e32 v11, vcc, 0, v13, vcc
	v_mul_lo_u32 v8, v7, v8
	v_add_co_u32_e32 v9, vcc, v9, v10
	v_addc_co_u32_e32 v9, vcc, v11, v12, vcc
	v_addc_co_u32_e32 v10, vcc, 0, v14, vcc
	v_add_co_u32_e32 v8, vcc, v9, v8
	v_addc_co_u32_e32 v9, vcc, 0, v10, vcc
	v_add_co_u32_e32 v4, vcc, v4, v8
	v_addc_co_u32_e32 v7, vcc, v7, v9, vcc
	v_mul_lo_u32 v8, s0, v7
	v_mul_hi_u32 v9, s0, v4
	v_mul_lo_u32 v10, s1, v4
	v_mul_lo_u32 v11, s0, v4
	v_add_u32_e32 v8, v9, v8
	v_add_u32_e32 v8, v8, v10
	v_mul_lo_u32 v12, v4, v8
	v_mul_hi_u32 v13, v4, v11
	v_mul_hi_u32 v14, v4, v8
	v_mul_hi_u32 v10, v7, v11
	v_mul_lo_u32 v11, v7, v11
	v_mul_hi_u32 v9, v7, v8
	v_add_co_u32_e32 v12, vcc, v13, v12
	v_addc_co_u32_e32 v13, vcc, 0, v14, vcc
	v_mul_lo_u32 v8, v7, v8
	v_add_co_u32_e32 v11, vcc, v12, v11
	v_addc_co_u32_e32 v10, vcc, v13, v10, vcc
	v_addc_co_u32_e32 v9, vcc, 0, v9, vcc
	v_add_co_u32_e32 v8, vcc, v10, v8
	v_addc_co_u32_e32 v9, vcc, 0, v9, vcc
	v_add_co_u32_e32 v4, vcc, v4, v8
	v_addc_co_u32_e32 v9, vcc, v7, v9, vcc
	v_mad_u64_u32 v[7:8], s[0:1], v5, v9, 0
	v_mul_hi_u32 v10, v5, v4
	v_add_co_u32_e32 v11, vcc, v10, v7
	v_addc_co_u32_e32 v12, vcc, 0, v8, vcc
	v_mad_u64_u32 v[7:8], s[0:1], v6, v4, 0
	v_mad_u64_u32 v[9:10], s[0:1], v6, v9, 0
	v_add_co_u32_e32 v4, vcc, v11, v7
	v_addc_co_u32_e32 v4, vcc, v12, v8, vcc
	v_addc_co_u32_e32 v7, vcc, 0, v10, vcc
	v_add_co_u32_e32 v4, vcc, v4, v9
	v_addc_co_u32_e32 v9, vcc, 0, v7, vcc
	v_mul_lo_u32 v10, s25, v4
	v_mul_lo_u32 v11, s24, v9
	v_mad_u64_u32 v[7:8], s[0:1], s24, v4, 0
	v_add3_u32 v8, v8, v11, v10
	v_sub_u32_e32 v10, v6, v8
	v_mov_b32_e32 v11, s25
	v_sub_co_u32_e32 v7, vcc, v5, v7
	v_subb_co_u32_e64 v10, s[0:1], v10, v11, vcc
	v_subrev_co_u32_e64 v11, s[0:1], s24, v7
	v_subbrev_co_u32_e64 v10, s[0:1], 0, v10, s[0:1]
	v_cmp_le_u32_e64 s[0:1], s25, v10
	v_cndmask_b32_e64 v12, 0, -1, s[0:1]
	v_cmp_le_u32_e64 s[0:1], s24, v11
	v_cndmask_b32_e64 v11, 0, -1, s[0:1]
	v_cmp_eq_u32_e64 s[0:1], s25, v10
	v_cndmask_b32_e64 v10, v12, v11, s[0:1]
	v_add_co_u32_e64 v11, s[0:1], 2, v4
	v_addc_co_u32_e64 v12, s[0:1], 0, v9, s[0:1]
	v_add_co_u32_e64 v13, s[0:1], 1, v4
	v_addc_co_u32_e64 v14, s[0:1], 0, v9, s[0:1]
	v_subb_co_u32_e32 v8, vcc, v6, v8, vcc
	v_cmp_ne_u32_e64 s[0:1], 0, v10
	v_cmp_le_u32_e32 vcc, s25, v8
	v_cndmask_b32_e64 v10, v14, v12, s[0:1]
	v_cndmask_b32_e64 v12, 0, -1, vcc
	v_cmp_le_u32_e32 vcc, s24, v7
	v_cndmask_b32_e64 v7, 0, -1, vcc
	v_cmp_eq_u32_e32 vcc, s25, v8
	v_cndmask_b32_e32 v7, v12, v7, vcc
	v_cmp_ne_u32_e32 vcc, 0, v7
	v_cndmask_b32_e64 v7, v13, v11, s[0:1]
	v_cndmask_b32_e32 v35, v9, v10, vcc
	v_cndmask_b32_e32 v34, v4, v7, vcc
.LBB0_4:                                ;   in Loop: Header=BB0_2 Depth=1
	s_andn2_saveexec_b64 s[0:1], s[26:27]
	s_cbranch_execz .LBB0_6
; %bb.5:                                ;   in Loop: Header=BB0_2 Depth=1
	v_cvt_f32_u32_e32 v4, s24
	s_sub_i32 s26, 0, s24
	v_mov_b32_e32 v35, v3
	v_rcp_iflag_f32_e32 v4, v4
	v_mul_f32_e32 v4, 0x4f7ffffe, v4
	v_cvt_u32_f32_e32 v4, v4
	v_mul_lo_u32 v7, s26, v4
	v_mul_hi_u32 v7, v4, v7
	v_add_u32_e32 v4, v4, v7
	v_mul_hi_u32 v4, v5, v4
	v_mul_lo_u32 v7, v4, s24
	v_add_u32_e32 v8, 1, v4
	v_sub_u32_e32 v7, v5, v7
	v_subrev_u32_e32 v9, s24, v7
	v_cmp_le_u32_e32 vcc, s24, v7
	v_cndmask_b32_e32 v7, v7, v9, vcc
	v_cndmask_b32_e32 v4, v4, v8, vcc
	v_add_u32_e32 v8, 1, v4
	v_cmp_le_u32_e32 vcc, s24, v7
	v_cndmask_b32_e32 v34, v4, v8, vcc
.LBB0_6:                                ;   in Loop: Header=BB0_2 Depth=1
	s_or_b64 exec, exec, s[0:1]
	v_mul_lo_u32 v4, v35, s24
	v_mul_lo_u32 v9, v34, s25
	v_mad_u64_u32 v[7:8], s[0:1], v34, s24, 0
	s_load_dwordx2 s[0:1], s[6:7], 0x0
	s_load_dwordx2 s[24:25], s[2:3], 0x0
	v_add3_u32 v4, v8, v9, v4
	v_sub_co_u32_e32 v5, vcc, v5, v7
	v_subb_co_u32_e32 v4, vcc, v6, v4, vcc
	s_waitcnt lgkmcnt(0)
	v_mul_lo_u32 v6, s0, v4
	v_mul_lo_u32 v7, s1, v5
	v_mad_u64_u32 v[1:2], s[0:1], s0, v5, v[1:2]
	v_mul_lo_u32 v4, s24, v4
	v_mul_lo_u32 v8, s25, v5
	v_mad_u64_u32 v[32:33], s[0:1], s24, v5, v[32:33]
	s_add_u32 s22, s22, 1
	s_addc_u32 s23, s23, 0
	s_add_u32 s2, s2, 8
	v_add3_u32 v33, v8, v33, v4
	s_addc_u32 s3, s3, 0
	v_mov_b32_e32 v4, s14
	s_add_u32 s6, s6, 8
	v_mov_b32_e32 v5, s15
	s_addc_u32 s7, s7, 0
	v_cmp_ge_u64_e32 vcc, s[22:23], v[4:5]
	s_add_u32 s20, s20, 8
	v_add3_u32 v2, v7, v2, v6
	s_addc_u32 s21, s21, 0
	s_cbranch_vccnz .LBB0_9
; %bb.7:                                ;   in Loop: Header=BB0_2 Depth=1
	v_mov_b32_e32 v5, v34
	v_mov_b32_e32 v6, v35
	s_branch .LBB0_2
.LBB0_8:
	v_mov_b32_e32 v33, v2
	v_mov_b32_e32 v35, v6
	;; [unrolled: 1-line block ×4, first 2 shown]
.LBB0_9:
	s_load_dwordx2 s[4:5], s[4:5], 0x28
	s_lshl_b64 s[6:7], s[14:15], 3
	s_add_u32 s2, s18, s6
	s_addc_u32 s3, s19, s7
                                        ; implicit-def: $vgpr36
	s_waitcnt lgkmcnt(0)
	v_cmp_gt_u64_e64 s[0:1], s[4:5], v[34:35]
	v_cmp_le_u64_e32 vcc, s[4:5], v[34:35]
	s_and_saveexec_b64 s[4:5], vcc
	s_xor_b64 s[4:5], exec, s[4:5]
; %bb.10:
	s_mov_b32 s14, 0x2762763
	v_mul_hi_u32 v1, v0, s14
	v_mul_u32_u24_e32 v1, 0x68, v1
	v_sub_u32_e32 v36, v0, v1
                                        ; implicit-def: $vgpr0
                                        ; implicit-def: $vgpr1_vgpr2
; %bb.11:
	s_andn2_saveexec_b64 s[4:5], s[4:5]
	s_cbranch_execz .LBB0_13
; %bb.12:
	s_add_u32 s6, s16, s6
	s_addc_u32 s7, s17, s7
	s_load_dwordx2 s[6:7], s[6:7], 0x0
	s_mov_b32 s14, 0x2762763
	v_mul_hi_u32 v5, v0, s14
	s_waitcnt lgkmcnt(0)
	v_mul_lo_u32 v6, s7, v34
	v_mul_lo_u32 v7, s6, v35
	v_mad_u64_u32 v[3:4], s[6:7], s6, v34, 0
	v_mul_u32_u24_e32 v5, 0x68, v5
	v_sub_u32_e32 v36, v0, v5
	v_add3_u32 v4, v4, v7, v6
	v_lshlrev_b64 v[3:4], 3, v[3:4]
	v_mov_b32_e32 v0, s9
	v_add_co_u32_e32 v3, vcc, s8, v3
	v_addc_co_u32_e32 v4, vcc, v0, v4, vcc
	v_lshlrev_b64 v[0:1], 3, v[1:2]
	v_lshlrev_b32_e32 v26, 3, v36
	v_add_co_u32_e32 v0, vcc, v3, v0
	v_addc_co_u32_e32 v1, vcc, v4, v1, vcc
	v_add_co_u32_e32 v0, vcc, v0, v26
	v_addc_co_u32_e32 v1, vcc, 0, v1, vcc
	s_movk_i32 s6, 0x1000
	v_add_co_u32_e32 v10, vcc, s6, v0
	v_addc_co_u32_e32 v11, vcc, 0, v1, vcc
	global_load_dwordx2 v[2:3], v[0:1], off
	global_load_dwordx2 v[4:5], v[0:1], off offset:832
	global_load_dwordx2 v[6:7], v[0:1], off offset:1664
	;; [unrolled: 1-line block ×7, first 2 shown]
	v_add_co_u32_e32 v0, vcc, 0x2000, v0
	v_addc_co_u32_e32 v1, vcc, 0, v1, vcc
	global_load_dwordx2 v[20:21], v[10:11], off offset:2560
	global_load_dwordx2 v[22:23], v[10:11], off offset:3392
	;; [unrolled: 1-line block ×3, first 2 shown]
	v_add_u32_e32 v0, 0, v26
	v_add_u32_e32 v1, 0x400, v0
	;; [unrolled: 1-line block ×5, first 2 shown]
	s_waitcnt vmcnt(9)
	ds_write2_b64 v0, v[2:3], v[4:5] offset1:104
	s_waitcnt vmcnt(7)
	ds_write2_b64 v1, v[6:7], v[8:9] offset0:80 offset1:184
	s_waitcnt vmcnt(5)
	ds_write2_b64 v10, v[12:13], v[14:15] offset0:32 offset1:136
	;; [unrolled: 2-line block ×4, first 2 shown]
	s_waitcnt vmcnt(0)
	ds_write_b64 v0, v[24:25] offset:8320
.LBB0_13:
	s_or_b64 exec, exec, s[4:5]
	v_lshl_add_u32 v38, v36, 3, 0
	s_waitcnt lgkmcnt(0)
	s_barrier
	ds_read2_b64 v[2:5], v38 offset1:88
	ds_read_b64 v[28:29], v38 offset:8448
	v_add_u32_e32 v31, 0x400, v38
	v_add_u32_e32 v37, 0x1800, v38
	ds_read2_b64 v[12:15], v31 offset0:48 offset1:136
	ds_read2_b64 v[8:11], v37 offset0:112 offset1:200
	s_waitcnt lgkmcnt(2)
	v_sub_f32_e32 v82, v5, v29
	v_add_f32_e32 v40, v28, v4
	s_mov_b32 s6, 0x3f62ad3f
	v_mul_f32_e32 v45, 0xbeedf032, v82
	s_waitcnt lgkmcnt(0)
	v_sub_f32_e32 v83, v13, v11
	v_add_f32_e32 v61, v29, v5
	v_fma_f32 v0, v40, s6, -v45
	s_mov_b32 s7, 0x3f116cb1
	v_add_f32_e32 v41, v10, v12
	v_mul_f32_e32 v48, 0xbf52af12, v83
	v_add_f32_e32 v0, v2, v0
	v_fma_f32 v1, v41, s7, -v48
	v_mul_f32_e32 v49, 0x3f62ad3f, v61
	v_add_f32_e32 v64, v11, v13
	v_add_f32_e32 v0, v1, v0
	v_sub_f32_e32 v42, v4, v28
	v_mov_b32_e32 v1, v49
	v_mul_f32_e32 v52, 0x3f116cb1, v64
	v_fmac_f32_e32 v1, 0xbeedf032, v42
	v_sub_f32_e32 v43, v12, v10
	v_mov_b32_e32 v6, v52
	v_sub_f32_e32 v84, v15, v9
	v_add_f32_e32 v1, v3, v1
	v_fmac_f32_e32 v6, 0xbf52af12, v43
	s_mov_b32 s8, 0x3df6dbef
	v_add_f32_e32 v44, v8, v14
	v_mul_f32_e32 v53, 0xbf7e222b, v84
	v_add_f32_e32 v1, v6, v1
	v_fma_f32 v6, v44, s8, -v53
	v_add_f32_e32 v0, v6, v0
	v_add_u32_e32 v6, 0x1400, v38
	v_add_u32_e32 v30, 0x800, v38
	ds_read2_b64 v[16:19], v6 offset0:64 offset1:152
	ds_read2_b64 v[20:23], v30 offset0:96 offset1:184
	v_add_f32_e32 v66, v9, v15
	v_mul_f32_e32 v55, 0x3df6dbef, v66
	v_sub_f32_e32 v46, v14, v8
	v_mov_b32_e32 v6, v55
	s_waitcnt lgkmcnt(0)
	v_sub_f32_e32 v85, v21, v19
	v_add_u32_e32 v39, 0x1000, v38
	v_fmac_f32_e32 v6, 0xbf7e222b, v46
	s_mov_b32 s9, 0xbeb58ec6
	v_add_f32_e32 v47, v18, v20
	v_mul_f32_e32 v57, 0xbf6f5d39, v85
	v_add_f32_e32 v69, v19, v21
	ds_read2_b64 v[24:27], v39 offset0:16 offset1:104
	v_add_f32_e32 v1, v6, v1
	v_fma_f32 v6, v47, s9, -v57
	v_mul_f32_e32 v59, 0xbeb58ec6, v69
	v_add_f32_e32 v0, v6, v0
	v_sub_f32_e32 v51, v20, v18
	v_mov_b32_e32 v6, v59
	v_sub_f32_e32 v86, v23, v17
	v_fmac_f32_e32 v6, 0xbf6f5d39, v51
	s_mov_b32 s14, 0xbf3f9e67
	v_add_f32_e32 v50, v16, v22
	v_mul_f32_e32 v60, 0xbf29c268, v86
	v_add_f32_e32 v73, v17, v23
	v_add_f32_e32 v1, v6, v1
	v_fma_f32 v6, v50, s14, -v60
	v_mul_f32_e32 v62, 0xbf3f9e67, v73
	v_add_f32_e32 v0, v6, v0
	v_sub_f32_e32 v54, v22, v16
	v_mov_b32_e32 v6, v62
	s_waitcnt lgkmcnt(0)
	v_add_f32_e32 v80, v27, v25
	v_fmac_f32_e32 v6, 0xbf29c268, v54
	v_mul_f32_e32 v65, 0xbf788fa5, v80
	v_add_f32_e32 v1, v6, v1
	v_sub_f32_e32 v58, v24, v26
	v_mov_b32_e32 v6, v65
	v_sub_f32_e32 v87, v25, v27
	s_mov_b32 s15, 0xbf788fa5
	v_fmac_f32_e32 v6, 0xbe750f2a, v58
	v_add_f32_e32 v56, v26, v24
	v_mul_f32_e32 v63, 0xbe750f2a, v87
	v_mul_f32_e32 v67, 0xbf52af12, v82
	v_fma_f32 v7, v56, s15, -v63
	v_add_f32_e32 v1, v6, v1
	v_fma_f32 v6, v40, s7, -v67
	v_mul_f32_e32 v68, 0xbf6f5d39, v83
	v_add_f32_e32 v0, v7, v0
	v_add_f32_e32 v6, v2, v6
	v_fma_f32 v7, v41, s9, -v68
	v_mul_f32_e32 v74, 0x3f116cb1, v61
	v_add_f32_e32 v6, v7, v6
	v_mov_b32_e32 v7, v74
	v_mul_f32_e32 v75, 0xbeb58ec6, v64
	v_fmac_f32_e32 v7, 0xbf52af12, v42
	v_mov_b32_e32 v70, v75
	v_add_f32_e32 v7, v3, v7
	v_fmac_f32_e32 v70, 0xbf6f5d39, v43
	v_add_f32_e32 v7, v70, v7
	v_mul_f32_e32 v70, 0xbe750f2a, v84
	v_fma_f32 v71, v44, s15, -v70
	v_mul_f32_e32 v76, 0xbf788fa5, v66
	v_add_f32_e32 v6, v71, v6
	v_mov_b32_e32 v71, v76
	v_fmac_f32_e32 v71, 0xbe750f2a, v46
	v_add_f32_e32 v7, v71, v7
	v_mul_f32_e32 v71, 0x3f29c268, v85
	v_fma_f32 v72, v47, s14, -v71
	v_mul_f32_e32 v77, 0xbf3f9e67, v69
	v_add_f32_e32 v6, v72, v6
	v_mov_b32_e32 v72, v77
	;; [unrolled: 7-line block ×3, first 2 shown]
	v_fmac_f32_e32 v78, 0x3f7e222b, v54
	v_mul_f32_e32 v81, 0x3f62ad3f, v80
	v_add_f32_e32 v7, v78, v7
	v_mov_b32_e32 v88, v81
	v_mul_f32_e32 v78, 0x3eedf032, v87
	v_fmac_f32_e32 v88, 0x3eedf032, v58
	v_fma_f32 v89, v56, s6, -v78
	s_movk_i32 s4, 0x58
	v_add_f32_e32 v6, v89, v6
	v_add_f32_e32 v7, v88, v7
	v_cmp_gt_u32_e32 vcc, s4, v36
	s_barrier
	s_and_saveexec_b64 s[4:5], vcc
	s_cbranch_execz .LBB0_15
; %bb.14:
	v_mul_f32_e32 v94, 0xbf7e222b, v42
	v_mov_b32_e32 v88, v94
	v_mul_f32_e32 v95, 0xbe750f2a, v43
	v_fmac_f32_e32 v88, 0x3df6dbef, v61
	v_mov_b32_e32 v89, v95
	v_add_f32_e32 v88, v3, v88
	v_fmac_f32_e32 v89, 0xbf788fa5, v64
	v_mul_f32_e32 v96, 0x3f6f5d39, v46
	v_add_f32_e32 v88, v89, v88
	v_mov_b32_e32 v89, v96
	v_fmac_f32_e32 v89, 0xbeb58ec6, v66
	v_mul_f32_e32 v97, 0x3eedf032, v51
	v_add_f32_e32 v88, v89, v88
	v_mov_b32_e32 v89, v97
	v_fmac_f32_e32 v89, 0x3f62ad3f, v69
	v_mul_f32_e32 v98, 0xbf52af12, v54
	v_add_f32_e32 v88, v89, v88
	v_mov_b32_e32 v89, v98
	v_fmac_f32_e32 v89, 0x3f116cb1, v73
	v_mul_f32_e32 v99, 0xbf29c268, v58
	v_add_f32_e32 v88, v89, v88
	v_mov_b32_e32 v89, v99
	v_fmac_f32_e32 v89, 0xbf3f9e67, v80
	v_mul_f32_e32 v100, 0xbf7e222b, v82
	v_add_f32_e32 v89, v89, v88
	v_fma_f32 v88, v40, s8, -v100
	v_mul_f32_e32 v101, 0xbe750f2a, v83
	v_add_f32_e32 v88, v2, v88
	v_fma_f32 v90, v41, s15, -v101
	;; [unrolled: 3-line block ×6, first 2 shown]
	v_mul_f32_e32 v106, 0xbf6f5d39, v42
	v_add_f32_e32 v88, v90, v88
	v_mov_b32_e32 v90, v106
	v_mul_f32_e32 v107, 0x3f29c268, v43
	v_fmac_f32_e32 v90, 0xbeb58ec6, v61
	v_mov_b32_e32 v91, v107
	v_add_f32_e32 v90, v3, v90
	v_fmac_f32_e32 v91, 0xbf3f9e67, v64
	v_mul_f32_e32 v108, 0x3eedf032, v46
	v_add_f32_e32 v90, v91, v90
	v_mov_b32_e32 v91, v108
	v_fmac_f32_e32 v91, 0x3f62ad3f, v66
	v_mul_f32_e32 v109, 0xbf7e222b, v51
	v_add_f32_e32 v90, v91, v90
	v_mov_b32_e32 v91, v109
	;; [unrolled: 4-line block ×4, first 2 shown]
	v_fmac_f32_e32 v91, 0x3f116cb1, v80
	v_mul_f32_e32 v112, 0xbf6f5d39, v82
	v_add_f32_e32 v91, v91, v90
	v_fma_f32 v90, v40, s9, -v112
	v_mul_f32_e32 v113, 0x3f29c268, v83
	v_add_f32_e32 v90, v2, v90
	v_fma_f32 v92, v41, s14, -v113
	;; [unrolled: 3-line block ×6, first 2 shown]
	v_mul_f32_e32 v118, 0xbf29c268, v42
	v_add_f32_e32 v90, v92, v90
	v_mov_b32_e32 v92, v118
	v_mul_f32_e32 v119, 0x3f7e222b, v43
	v_fmac_f32_e32 v92, 0xbf3f9e67, v61
	v_mov_b32_e32 v93, v119
	v_add_f32_e32 v92, v3, v92
	v_fmac_f32_e32 v93, 0x3df6dbef, v64
	v_mul_f32_e32 v120, 0xbf52af12, v46
	v_add_f32_e32 v92, v93, v92
	v_mov_b32_e32 v93, v120
	v_fmac_f32_e32 v93, 0x3f116cb1, v66
	v_mul_f32_e32 v121, 0x3e750f2a, v51
	v_add_f32_e32 v92, v93, v92
	v_mov_b32_e32 v93, v121
	;; [unrolled: 4-line block ×3, first 2 shown]
	v_fmac_f32_e32 v93, 0x3f62ad3f, v73
	v_mul_f32_e32 v123, 0xbf29c268, v82
	v_add_f32_e32 v92, v93, v92
	v_fma_f32 v93, v40, s14, -v123
	v_mul_f32_e32 v124, 0x3f7e222b, v83
	v_add_f32_e32 v93, v2, v93
	v_fma_f32 v125, v41, s8, -v124
	v_add_f32_e32 v93, v125, v93
	v_mul_f32_e32 v125, 0xbf52af12, v84
	v_fma_f32 v126, v44, s7, -v125
	v_add_f32_e32 v93, v126, v93
	v_mul_f32_e32 v126, 0x3e750f2a, v85
	;; [unrolled: 3-line block ×3, first 2 shown]
	v_fma_f32 v128, v50, s6, -v127
	v_mul_f32_e32 v129, 0xbf6f5d39, v58
	v_add_f32_e32 v128, v128, v93
	v_mov_b32_e32 v93, v129
	v_fmac_f32_e32 v93, 0xbeb58ec6, v80
	v_mul_f32_e32 v130, 0xbf6f5d39, v87
	v_add_f32_e32 v93, v93, v92
	v_fma_f32 v92, v56, s9, -v130
	v_add_f32_e32 v92, v92, v128
	v_mul_f32_e32 v128, 0xbf788fa5, v61
	v_mov_b32_e32 v131, v128
	v_mul_f32_e32 v132, 0x3f62ad3f, v64
	v_fmac_f32_e32 v131, 0x3e750f2a, v42
	v_mov_b32_e32 v133, v132
	v_add_f32_e32 v131, v3, v131
	v_fmac_f32_e32 v133, 0xbeedf032, v43
	v_add_f32_e32 v131, v133, v131
	v_mul_f32_e32 v133, 0xbf3f9e67, v66
	v_mov_b32_e32 v134, v133
	v_fmac_f32_e32 v134, 0x3f29c268, v46
	v_add_f32_e32 v131, v134, v131
	v_mul_f32_e32 v134, 0x3f116cb1, v69
	v_mov_b32_e32 v135, v134
	;; [unrolled: 4-line block ×4, first 2 shown]
	v_mul_f32_e32 v137, 0x3eedf032, v83
	v_fmac_f32_e32 v82, 0xbf788fa5, v40
	v_mov_b32_e32 v83, v137
	v_add_f32_e32 v82, v2, v82
	v_fmac_f32_e32 v83, 0x3f62ad3f, v41
	v_mul_f32_e32 v138, 0xbf29c268, v84
	v_add_f32_e32 v82, v83, v82
	v_mov_b32_e32 v83, v138
	v_fmac_f32_e32 v83, 0xbf3f9e67, v44
	v_mul_f32_e32 v139, 0x3f52af12, v85
	v_add_f32_e32 v82, v83, v82
	v_mov_b32_e32 v83, v139
	;; [unrolled: 4-line block ×4, first 2 shown]
	v_fmac_f32_e32 v83, 0xbf7e222b, v58
	v_add_f32_e32 v83, v83, v131
	v_mul_f32_e32 v131, 0x3f7e222b, v87
	v_mov_b32_e32 v84, v131
	v_fmac_f32_e32 v84, 0x3df6dbef, v56
	v_add_f32_e32 v82, v84, v82
	v_fma_f32 v84, v61, s14, -v118
	v_add_f32_e32 v84, v3, v84
	v_fma_f32 v85, v64, s8, -v119
	;; [unrolled: 2-line block ×5, first 2 shown]
	v_fmac_f32_e32 v123, 0xbf3f9e67, v40
	v_add_f32_e32 v84, v85, v84
	v_add_f32_e32 v85, v2, v123
	v_fmac_f32_e32 v124, 0x3df6dbef, v41
	v_add_f32_e32 v85, v124, v85
	v_fmac_f32_e32 v125, 0x3f116cb1, v44
	;; [unrolled: 2-line block ×4, first 2 shown]
	v_add_f32_e32 v86, v127, v85
	v_fma_f32 v85, v80, s9, -v129
	v_fmac_f32_e32 v130, 0xbeb58ec6, v56
	v_add_f32_e32 v85, v85, v84
	v_add_f32_e32 v84, v130, v86
	v_fma_f32 v86, v61, s9, -v106
	v_add_f32_e32 v86, v3, v86
	v_fma_f32 v87, v64, s14, -v107
	;; [unrolled: 2-line block ×3, first 2 shown]
	v_add_f32_e32 v4, v2, v4
	v_add_f32_e32 v86, v87, v86
	v_fma_f32 v87, v69, s8, -v109
	v_add_f32_e32 v4, v4, v12
	v_add_f32_e32 v86, v87, v86
	v_fma_f32 v87, v73, s15, -v110
	v_fmac_f32_e32 v112, 0xbeb58ec6, v40
	v_add_f32_e32 v4, v4, v14
	v_add_f32_e32 v86, v87, v86
	;; [unrolled: 1-line block ×3, first 2 shown]
	v_fmac_f32_e32 v113, 0xbf3f9e67, v41
	v_add_f32_e32 v4, v4, v20
	v_add_f32_e32 v87, v113, v87
	v_fmac_f32_e32 v114, 0x3f62ad3f, v44
	v_fma_f32 v61, v61, s8, -v94
	v_add_f32_e32 v5, v3, v5
	v_add_f32_e32 v4, v4, v22
	;; [unrolled: 1-line block ×3, first 2 shown]
	v_fmac_f32_e32 v115, 0x3df6dbef, v47
	v_fma_f32 v64, v64, s15, -v95
	v_add_f32_e32 v61, v3, v61
	v_add_f32_e32 v5, v5, v13
	;; [unrolled: 1-line block ×4, first 2 shown]
	v_fmac_f32_e32 v116, 0xbf788fa5, v50
	v_add_f32_e32 v61, v64, v61
	v_fma_f32 v66, v66, s9, -v96
	v_add_f32_e32 v5, v5, v15
	v_add_f32_e32 v4, v4, v26
	;; [unrolled: 1-line block ×3, first 2 shown]
	v_fma_f32 v87, v80, s7, -v111
	v_fmac_f32_e32 v117, 0x3f116cb1, v56
	v_add_f32_e32 v61, v66, v61
	v_fma_f32 v69, v69, s6, -v97
	v_add_f32_e32 v5, v5, v21
	v_add_f32_e32 v4, v4, v16
	;; [unrolled: 1-line block ×4, first 2 shown]
	v_mul_f32_e32 v106, 0x3f62ad3f, v40
	v_mul_f32_e32 v107, 0xbeedf032, v42
	;; [unrolled: 1-line block ×3, first 2 shown]
	v_add_f32_e32 v61, v69, v61
	v_fma_f32 v69, v73, s7, -v98
	v_fmac_f32_e32 v100, 0x3df6dbef, v40
	v_add_f32_e32 v5, v5, v23
	v_add_f32_e32 v4, v4, v18
	v_mul_f32_e32 v109, 0xbf52af12, v42
	v_mul_f32_e32 v64, 0x3f116cb1, v41
	;; [unrolled: 1-line block ×3, first 2 shown]
	v_add_f32_e32 v61, v69, v61
	v_fma_f32 v69, v80, s14, -v99
	v_add_f32_e32 v94, v2, v100
	v_fmac_f32_e32 v101, 0xbf788fa5, v41
	v_add_f32_e32 v67, v108, v67
	v_sub_f32_e32 v49, v49, v107
	v_add_f32_e32 v45, v106, v45
	v_add_f32_e32 v5, v5, v25
	;; [unrolled: 1-line block ×3, first 2 shown]
	v_fma_f32 v8, v40, s15, -v136
	v_mul_f32_e32 v66, 0xbeb58ec6, v41
	v_mul_f32_e32 v97, 0xbf6f5d39, v43
	;; [unrolled: 1-line block ×4, first 2 shown]
	v_add_f32_e32 v94, v101, v94
	v_fmac_f32_e32 v102, 0xbeb58ec6, v44
	v_add_f32_e32 v95, v69, v61
	v_sub_f32_e32 v69, v74, v109
	v_add_f32_e32 v67, v2, v67
	v_add_f32_e32 v49, v3, v49
	v_sub_f32_e32 v52, v52, v96
	v_add_f32_e32 v45, v2, v45
	v_add_f32_e32 v48, v64, v48
	;; [unrolled: 1-line block ×3, first 2 shown]
	v_fmac_f32_e32 v128, 0xbe750f2a, v42
	v_add_f32_e32 v2, v2, v8
	v_fma_f32 v8, v41, s6, -v137
	v_mul_f32_e32 v98, 0xbf788fa5, v44
	v_mul_f32_e32 v80, 0xbe750f2a, v46
	;; [unrolled: 1-line block ×3, first 2 shown]
	v_add_f32_e32 v94, v102, v94
	v_mul_f32_e32 v100, 0xbf6f5d39, v51
	v_fmac_f32_e32 v103, 0x3f62ad3f, v47
	v_sub_f32_e32 v75, v75, v97
	v_add_f32_e32 v69, v3, v69
	v_add_f32_e32 v66, v66, v68
	;; [unrolled: 1-line block ×3, first 2 shown]
	v_sub_f32_e32 v52, v55, v73
	v_add_f32_e32 v45, v48, v45
	v_add_f32_e32 v48, v110, v53
	v_add_f32_e32 v5, v5, v17
	v_add_f32_e32 v3, v3, v128
	v_fmac_f32_e32 v132, 0x3eedf032, v43
	v_add_f32_e32 v2, v8, v2
	v_fma_f32 v8, v44, s14, -v138
	v_add_f32_e32 v94, v103, v94
	v_mul_f32_e32 v101, 0xbf3f9e67, v47
	v_mul_f32_e32 v102, 0x3f29c268, v51
	;; [unrolled: 1-line block ×4, first 2 shown]
	v_add_f32_e32 v69, v75, v69
	v_sub_f32_e32 v76, v76, v80
	v_add_f32_e32 v66, v66, v67
	v_add_f32_e32 v67, v98, v70
	;; [unrolled: 1-line block ×3, first 2 shown]
	v_sub_f32_e32 v52, v59, v100
	v_add_f32_e32 v45, v48, v45
	v_add_f32_e32 v48, v99, v57
	;; [unrolled: 1-line block ×4, first 2 shown]
	v_fmac_f32_e32 v133, 0xbf29c268, v46
	v_add_f32_e32 v2, v8, v2
	v_fma_f32 v8, v47, s7, -v139
	v_mul_f32_e32 v74, 0x3df6dbef, v50
	v_mul_f32_e32 v97, 0x3f7e222b, v54
	;; [unrolled: 1-line block ×4, first 2 shown]
	v_add_f32_e32 v69, v76, v69
	v_sub_f32_e32 v77, v77, v102
	v_add_f32_e32 v66, v67, v66
	v_add_f32_e32 v67, v101, v71
	;; [unrolled: 1-line block ×3, first 2 shown]
	v_sub_f32_e32 v52, v62, v103
	v_add_f32_e32 v45, v48, v45
	v_add_f32_e32 v48, v61, v60
	;; [unrolled: 1-line block ×4, first 2 shown]
	v_fmac_f32_e32 v134, 0x3f52af12, v51
	v_add_f32_e32 v2, v8, v2
	v_fma_f32 v8, v50, s9, -v140
	v_fmac_f32_e32 v104, 0x3f116cb1, v50
	v_mul_f32_e32 v76, 0x3f62ad3f, v56
	v_mul_f32_e32 v102, 0x3eedf032, v58
	v_add_f32_e32 v69, v77, v69
	v_sub_f32_e32 v77, v79, v97
	v_add_f32_e32 v66, v67, v66
	v_add_f32_e32 v67, v74, v72
	;; [unrolled: 1-line block ×3, first 2 shown]
	v_sub_f32_e32 v52, v65, v80
	v_add_f32_e32 v45, v48, v45
	v_add_f32_e32 v48, v75, v63
	;; [unrolled: 1-line block ×5, first 2 shown]
	v_fmac_f32_e32 v135, 0xbf6f5d39, v54
	v_add_f32_e32 v2, v8, v2
	v_fma_f32 v8, v56, s8, -v131
	s_movk_i32 s6, 0x60
	v_add_f32_e32 v94, v104, v94
	v_fmac_f32_e32 v105, 0xbf3f9e67, v56
	v_add_f32_e32 v69, v77, v69
	v_sub_f32_e32 v77, v81, v102
	v_add_f32_e32 v66, v67, v66
	v_add_f32_e32 v67, v76, v78
	;; [unrolled: 1-line block ×7, first 2 shown]
	v_fmac_f32_e32 v141, 0x3f7e222b, v58
	v_add_f32_e32 v2, v8, v2
	v_mad_u32_u24 v8, v36, s6, v38
	v_add_f32_e32 v94, v105, v94
	v_add_f32_e32 v69, v77, v69
	v_add_f32_e32 v68, v67, v66
	v_add_f32_e32 v3, v141, v3
	ds_write2_b64 v8, v[4:5], v[48:49] offset1:1
	ds_write2_b64 v8, v[68:69], v[94:95] offset0:2 offset1:3
	ds_write2_b64 v8, v[86:87], v[84:85] offset0:4 offset1:5
	;; [unrolled: 1-line block ×5, first 2 shown]
	ds_write_b64 v8, v[0:1] offset:96
.LBB0_15:
	s_or_b64 exec, exec, s[4:5]
	s_movk_i32 s4, 0x4f
	v_mul_lo_u16_sdwa v2, v36, s4 dst_sel:DWORD dst_unused:UNUSED_PAD src0_sel:BYTE_0 src1_sel:DWORD
	v_lshrrev_b16_e32 v3, 10, v2
	v_mul_lo_u16_e32 v2, 13, v3
	v_sub_u16_e32 v12, v36, v2
	v_mov_b32_e32 v2, 10
	v_mul_u32_u24_sdwa v2, v12, v2 dst_sel:DWORD dst_unused:UNUSED_PAD src0_sel:BYTE_0 src1_sel:DWORD
	v_lshlrev_b32_e32 v2, 3, v2
	s_load_dwordx2 s[2:3], s[2:3], 0x0
	s_waitcnt lgkmcnt(0)
	s_barrier
	global_load_dwordx4 v[8:11], v2, s[12:13]
	global_load_dwordx4 v[13:16], v2, s[12:13] offset:16
	global_load_dwordx4 v[17:20], v2, s[12:13] offset:32
	;; [unrolled: 1-line block ×4, first 2 shown]
	ds_read2_b64 v[40:43], v38 offset1:104
	ds_read2_b64 v[44:47], v31 offset0:80 offset1:184
	ds_read2_b64 v[48:51], v39 offset0:112 offset1:216
	;; [unrolled: 1-line block ×3, first 2 shown]
	ds_read_b64 v[4:5], v38 offset:8320
	v_add_u32_e32 v2, 0xc00, v38
	ds_read2_b64 v[56:59], v2 offset0:32 offset1:136
	s_mov_b32 s4, 0x3f575c64
	s_mov_b32 s5, 0x3ed4b147
	;; [unrolled: 1-line block ×5, first 2 shown]
	v_mul_u32_u24_e32 v3, 0x478, v3
	s_waitcnt vmcnt(0) lgkmcnt(0)
	s_barrier
	v_cmp_gt_u32_e32 vcc, 39, v36
	v_mul_f32_e32 v29, v9, v43
	v_mul_f32_e32 v9, v9, v42
	;; [unrolled: 1-line block ×3, first 2 shown]
	v_fmac_f32_e32 v29, v8, v42
	v_mul_f32_e32 v67, v5, v28
	v_mul_f32_e32 v28, v4, v28
	;; [unrolled: 1-line block ×5, first 2 shown]
	v_fma_f32 v8, v8, v43, -v9
	v_fmac_f32_e32 v31, v10, v44
	v_fmac_f32_e32 v67, v4, v27
	v_fma_f32 v4, v5, v27, -v28
	v_add_f32_e32 v5, v29, v40
	v_mul_f32_e32 v61, v16, v57
	v_fma_f32 v9, v10, v45, -v11
	v_fmac_f32_e32 v60, v13, v46
	v_fma_f32 v10, v13, v47, -v14
	v_add_f32_e32 v13, v8, v41
	v_add_f32_e32 v5, v5, v31
	v_mul_f32_e32 v16, v16, v56
	v_mul_f32_e32 v62, v18, v59
	v_fmac_f32_e32 v61, v15, v56
	v_add_f32_e32 v13, v13, v9
	v_add_f32_e32 v5, v5, v60
	v_mul_f32_e32 v18, v18, v58
	v_mul_f32_e32 v63, v49, v20
	v_fma_f32 v11, v15, v57, -v16
	v_fmac_f32_e32 v62, v17, v58
	v_add_f32_e32 v13, v13, v10
	v_add_f32_e32 v5, v5, v61
	v_mul_f32_e32 v20, v48, v20
	v_mul_f32_e32 v64, v51, v22
	v_fma_f32 v15, v17, v59, -v18
	;; [unrolled: 6-line block ×4, first 2 shown]
	v_fmac_f32_e32 v65, v52, v23
	v_add_f32_e32 v21, v8, v4
	v_sub_f32_e32 v8, v8, v4
	v_add_f32_e32 v13, v13, v16
	v_add_f32_e32 v5, v5, v64
	v_mul_f32_e32 v26, v54, v26
	v_fma_f32 v18, v53, v23, -v24
	v_fmac_f32_e32 v66, v54, v25
	v_add_f32_e32 v20, v29, v67
	v_mul_f32_e32 v14, 0xbf0a6770, v8
	v_add_f32_e32 v13, v13, v17
	v_add_f32_e32 v5, v5, v65
	v_fma_f32 v19, v55, v25, -v26
	v_sub_f32_e32 v22, v29, v67
	v_mul_f32_e32 v23, 0x3f575c64, v21
	v_mov_b32_e32 v24, v14
	v_fma_f32 v14, v20, s4, -v14
	v_add_f32_e32 v13, v13, v18
	v_add_f32_e32 v5, v5, v66
	v_mul_f32_e32 v27, 0x3ed4b147, v21
	v_mul_f32_e32 v43, 0xbe11bafb, v21
	;; [unrolled: 1-line block ×4, first 2 shown]
	v_mov_b32_e32 v25, v23
	v_add_f32_e32 v26, v14, v40
	v_add_f32_e32 v14, v13, v19
	;; [unrolled: 1-line block ×3, first 2 shown]
	v_fmac_f32_e32 v23, 0xbf0a6770, v22
	v_mul_f32_e32 v5, 0xbf68dda4, v8
	v_mov_b32_e32 v28, v27
	v_mul_f32_e32 v29, 0xbf7d64f0, v8
	v_mov_b32_e32 v44, v43
	v_mul_f32_e32 v45, 0xbf4178ce, v8
	v_mov_b32_e32 v48, v47
	v_mul_f32_e32 v8, 0xbe903f40, v8
	v_mov_b32_e32 v50, v21
	v_fmac_f32_e32 v25, 0x3f0a6770, v22
	v_add_f32_e32 v14, v14, v4
	v_add_f32_e32 v4, v23, v41
	v_mov_b32_e32 v23, v5
	v_fmac_f32_e32 v28, 0x3f68dda4, v22
	v_fmac_f32_e32 v27, 0xbf68dda4, v22
	v_mov_b32_e32 v42, v29
	v_fmac_f32_e32 v44, 0x3f7d64f0, v22
	v_fmac_f32_e32 v43, 0xbf7d64f0, v22
	;; [unrolled: 3-line block ×4, first 2 shown]
	v_add_f32_e32 v22, v9, v19
	v_sub_f32_e32 v9, v9, v19
	v_fmac_f32_e32 v24, 0x3f575c64, v20
	v_fmac_f32_e32 v23, 0x3ed4b147, v20
	v_fma_f32 v5, v20, s5, -v5
	v_fmac_f32_e32 v42, 0xbe11bafb, v20
	v_fma_f32 v29, v20, s6, -v29
	;; [unrolled: 2-line block ×4, first 2 shown]
	v_mul_f32_e32 v19, 0xbf68dda4, v9
	v_add_f32_e32 v24, v24, v40
	v_add_f32_e32 v23, v23, v40
	;; [unrolled: 1-line block ×11, first 2 shown]
	v_mov_b32_e32 v40, v19
	v_fmac_f32_e32 v40, 0x3ed4b147, v21
	v_sub_f32_e32 v31, v31, v66
	v_add_f32_e32 v24, v40, v24
	v_mul_f32_e32 v40, 0x3ed4b147, v22
	v_fma_f32 v19, v21, s5, -v19
	v_add_f32_e32 v25, v25, v41
	v_add_f32_e32 v28, v28, v41
	;; [unrolled: 1-line block ×8, first 2 shown]
	v_mov_b32_e32 v41, v40
	v_add_f32_e32 v19, v19, v26
	v_fmac_f32_e32 v40, 0xbf68dda4, v31
	v_mul_f32_e32 v26, 0xbf4178ce, v9
	v_add_f32_e32 v4, v40, v4
	v_mov_b32_e32 v40, v26
	v_fmac_f32_e32 v40, 0xbf27a4f4, v21
	v_fmac_f32_e32 v41, 0x3f68dda4, v31
	v_add_f32_e32 v23, v40, v23
	v_mul_f32_e32 v40, 0xbf27a4f4, v22
	v_add_f32_e32 v25, v41, v25
	v_mov_b32_e32 v41, v40
	v_fma_f32 v26, v21, s7, -v26
	v_fmac_f32_e32 v40, 0xbf4178ce, v31
	v_add_f32_e32 v5, v26, v5
	v_add_f32_e32 v26, v40, v27
	v_mul_f32_e32 v27, 0x3e903f40, v9
	v_fmac_f32_e32 v41, 0x3f4178ce, v31
	v_mov_b32_e32 v40, v27
	v_add_f32_e32 v28, v41, v28
	v_fmac_f32_e32 v40, 0xbf75a155, v21
	v_mul_f32_e32 v41, 0xbf75a155, v22
	v_add_f32_e32 v40, v40, v42
	v_mov_b32_e32 v42, v41
	v_fma_f32 v27, v21, s8, -v27
	v_fmac_f32_e32 v41, 0x3e903f40, v31
	v_add_f32_e32 v27, v27, v29
	v_add_f32_e32 v29, v41, v43
	v_mul_f32_e32 v41, 0x3f7d64f0, v9
	v_fmac_f32_e32 v42, 0xbe903f40, v31
	v_mov_b32_e32 v43, v41
	v_fma_f32 v41, v21, s6, -v41
	v_mul_f32_e32 v9, 0x3f0a6770, v9
	v_add_f32_e32 v42, v42, v44
	v_fmac_f32_e32 v43, 0xbe11bafb, v21
	v_mul_f32_e32 v44, 0xbe11bafb, v22
	v_add_f32_e32 v41, v41, v45
	v_mov_b32_e32 v45, v9
	v_add_f32_e32 v43, v43, v46
	v_mov_b32_e32 v46, v44
	v_fmac_f32_e32 v44, 0x3f7d64f0, v31
	v_fmac_f32_e32 v45, 0x3f575c64, v21
	v_mul_f32_e32 v22, 0x3f575c64, v22
	v_fma_f32 v9, v21, s4, -v9
	v_add_f32_e32 v21, v10, v18
	v_sub_f32_e32 v10, v10, v18
	v_add_f32_e32 v44, v44, v47
	v_mov_b32_e32 v47, v22
	v_fmac_f32_e32 v22, 0x3f0a6770, v31
	v_mul_f32_e32 v18, 0xbf7d64f0, v10
	v_fmac_f32_e32 v46, 0xbf7d64f0, v31
	v_fmac_f32_e32 v47, 0xbf0a6770, v31
	v_add_f32_e32 v8, v9, v8
	v_add_f32_e32 v9, v22, v20
	;; [unrolled: 1-line block ×3, first 2 shown]
	v_mov_b32_e32 v31, v18
	v_fmac_f32_e32 v31, 0xbe11bafb, v20
	v_sub_f32_e32 v22, v60, v65
	v_add_f32_e32 v24, v31, v24
	v_mul_f32_e32 v31, 0xbe11bafb, v21
	v_fma_f32 v18, v20, s6, -v18
	v_add_f32_e32 v46, v46, v48
	v_mov_b32_e32 v48, v31
	v_add_f32_e32 v18, v18, v19
	v_fmac_f32_e32 v31, 0xbf7d64f0, v22
	v_mul_f32_e32 v19, 0x3e903f40, v10
	v_add_f32_e32 v4, v31, v4
	v_mov_b32_e32 v31, v19
	v_fmac_f32_e32 v31, 0xbf75a155, v20
	v_fmac_f32_e32 v48, 0x3f7d64f0, v22
	v_add_f32_e32 v23, v31, v23
	v_mul_f32_e32 v31, 0xbf75a155, v21
	v_add_f32_e32 v25, v48, v25
	v_mov_b32_e32 v48, v31
	v_fma_f32 v19, v20, s8, -v19
	v_fmac_f32_e32 v31, 0x3e903f40, v22
	v_add_f32_e32 v5, v19, v5
	v_add_f32_e32 v19, v31, v26
	v_mul_f32_e32 v26, 0x3f68dda4, v10
	v_mov_b32_e32 v31, v26
	v_fmac_f32_e32 v31, 0x3ed4b147, v20
	v_fmac_f32_e32 v48, 0xbe903f40, v22
	v_add_f32_e32 v31, v31, v40
	v_mul_f32_e32 v40, 0x3ed4b147, v21
	v_add_f32_e32 v28, v48, v28
	v_mov_b32_e32 v48, v40
	v_fma_f32 v26, v20, s5, -v26
	v_fmac_f32_e32 v40, 0x3f68dda4, v22
	v_add_f32_e32 v26, v26, v27
	v_add_f32_e32 v27, v40, v29
	v_mul_f32_e32 v29, 0xbf0a6770, v10
	v_mov_b32_e32 v40, v29
	v_fmac_f32_e32 v40, 0x3f575c64, v20
	v_fmac_f32_e32 v48, 0xbf68dda4, v22
	v_add_f32_e32 v40, v40, v43
	v_mul_f32_e32 v43, 0x3f575c64, v21
	v_add_f32_e32 v42, v48, v42
	v_mov_b32_e32 v48, v43
	v_fma_f32 v29, v20, s4, -v29
	v_fmac_f32_e32 v43, 0xbf0a6770, v22
	v_mul_f32_e32 v10, 0xbf4178ce, v10
	v_add_f32_e32 v29, v29, v41
	v_add_f32_e32 v41, v43, v44
	v_mov_b32_e32 v43, v10
	v_fmac_f32_e32 v43, 0xbf27a4f4, v20
	v_mul_f32_e32 v21, 0xbf27a4f4, v21
	v_fma_f32 v10, v20, s7, -v10
	v_add_f32_e32 v20, v11, v17
	v_sub_f32_e32 v11, v11, v17
	v_mov_b32_e32 v44, v21
	v_mul_f32_e32 v17, 0xbf4178ce, v11
	v_fmac_f32_e32 v48, 0x3f0a6770, v22
	v_fmac_f32_e32 v44, 0x3f4178ce, v22
	v_add_f32_e32 v8, v10, v8
	v_fmac_f32_e32 v21, 0xbf4178ce, v22
	v_add_f32_e32 v10, v61, v64
	v_mov_b32_e32 v22, v17
	v_fmac_f32_e32 v22, 0xbf27a4f4, v10
	v_add_f32_e32 v45, v45, v49
	v_add_f32_e32 v9, v21, v9
	v_sub_f32_e32 v21, v61, v64
	v_add_f32_e32 v22, v22, v24
	v_mul_f32_e32 v24, 0xbf27a4f4, v20
	v_add_f32_e32 v43, v43, v45
	v_mov_b32_e32 v45, v24
	v_fma_f32 v17, v10, s7, -v17
	v_fmac_f32_e32 v24, 0xbf4178ce, v21
	v_add_f32_e32 v17, v17, v18
	v_add_f32_e32 v18, v24, v4
	v_mul_f32_e32 v4, 0x3f7d64f0, v11
	v_mov_b32_e32 v24, v4
	v_fmac_f32_e32 v24, 0xbe11bafb, v10
	v_fmac_f32_e32 v45, 0x3f4178ce, v21
	v_add_f32_e32 v23, v24, v23
	v_mul_f32_e32 v24, 0xbe11bafb, v20
	v_add_f32_e32 v25, v45, v25
	v_mov_b32_e32 v45, v24
	v_fmac_f32_e32 v45, 0xbf7d64f0, v21
	v_fma_f32 v4, v10, s6, -v4
	v_add_f32_e32 v28, v45, v28
	v_add_f32_e32 v45, v4, v5
	v_mul_f32_e32 v4, 0xbf0a6770, v11
	v_mov_b32_e32 v5, v4
	v_fmac_f32_e32 v24, 0x3f7d64f0, v21
	v_fmac_f32_e32 v5, 0x3f575c64, v10
	v_add_f32_e32 v19, v24, v19
	v_add_f32_e32 v24, v5, v31
	v_mul_f32_e32 v5, 0x3f575c64, v20
	v_fma_f32 v4, v10, s4, -v4
	v_mov_b32_e32 v31, v5
	v_add_f32_e32 v26, v4, v26
	v_fmac_f32_e32 v5, 0xbf0a6770, v21
	v_mul_f32_e32 v4, 0xbe903f40, v11
	v_add_f32_e32 v27, v5, v27
	v_mov_b32_e32 v5, v4
	v_fmac_f32_e32 v5, 0xbf75a155, v10
	v_fmac_f32_e32 v31, 0x3f0a6770, v21
	v_add_f32_e32 v40, v5, v40
	v_mul_f32_e32 v5, 0xbf75a155, v20
	v_fma_f32 v4, v10, s8, -v4
	v_add_f32_e32 v31, v31, v42
	v_mov_b32_e32 v42, v5
	v_add_f32_e32 v29, v4, v29
	v_fmac_f32_e32 v5, 0xbe903f40, v21
	v_mul_f32_e32 v4, 0x3f68dda4, v11
	v_add_f32_e32 v41, v5, v41
	v_mov_b32_e32 v5, v4
	v_fmac_f32_e32 v5, 0x3ed4b147, v10
	v_add_f32_e32 v46, v48, v46
	v_fmac_f32_e32 v42, 0x3e903f40, v21
	v_add_f32_e32 v43, v5, v43
	v_mul_f32_e32 v5, 0x3ed4b147, v20
	v_fma_f32 v4, v10, s5, -v4
	v_sub_f32_e32 v51, v15, v16
	v_add_f32_e32 v47, v47, v50
	v_add_f32_e32 v42, v42, v46
	v_mov_b32_e32 v11, v5
	v_add_f32_e32 v46, v4, v8
	v_fmac_f32_e32 v5, 0x3f68dda4, v21
	v_mul_f32_e32 v4, 0xbe903f40, v51
	v_add_f32_e32 v44, v44, v47
	v_add_f32_e32 v47, v5, v9
	;; [unrolled: 1-line block ×3, first 2 shown]
	v_mov_b32_e32 v5, v4
	v_add_f32_e32 v49, v15, v16
	v_fmac_f32_e32 v5, 0xbf75a155, v48
	v_add_f32_e32 v15, v5, v22
	v_mul_f32_e32 v5, 0xbf75a155, v49
	v_sub_f32_e32 v50, v62, v63
	v_mov_b32_e32 v8, v5
	v_fmac_f32_e32 v8, 0x3e903f40, v50
	v_add_f32_e32 v16, v8, v25
	v_mul_f32_e32 v8, 0x3f0a6770, v51
	v_mov_b32_e32 v9, v8
	v_fma_f32 v4, v48, s8, -v4
	v_fmac_f32_e32 v9, 0x3f575c64, v48
	v_add_f32_e32 v4, v4, v17
	v_add_f32_e32 v17, v9, v23
	v_mul_f32_e32 v9, 0x3f575c64, v49
	v_mov_b32_e32 v10, v9
	v_fmac_f32_e32 v5, 0xbe903f40, v50
	v_fmac_f32_e32 v10, 0xbf0a6770, v50
	v_fma_f32 v8, v48, s4, -v8
	v_fmac_f32_e32 v11, 0xbf68dda4, v21
	v_add_f32_e32 v5, v5, v18
	v_add_f32_e32 v18, v10, v28
	;; [unrolled: 1-line block ×3, first 2 shown]
	v_fmac_f32_e32 v9, 0x3f0a6770, v50
	v_mul_f32_e32 v8, 0xbf4178ce, v51
	v_add_f32_e32 v44, v11, v44
	v_add_f32_e32 v11, v9, v19
	v_mov_b32_e32 v9, v8
	v_fmac_f32_e32 v9, 0xbf27a4f4, v48
	v_add_f32_e32 v19, v9, v24
	v_mul_f32_e32 v9, 0xbf27a4f4, v49
	v_mov_b32_e32 v20, v9
	v_fmac_f32_e32 v9, 0xbf4178ce, v50
	v_mul_f32_e32 v23, 0x3f68dda4, v51
	v_fma_f32 v8, v48, s7, -v8
	v_add_f32_e32 v9, v9, v27
	v_mov_b32_e32 v21, v23
	v_mul_f32_e32 v24, 0x3ed4b147, v49
	v_fma_f32 v23, v48, s5, -v23
	v_mul_f32_e32 v27, 0xbf7d64f0, v51
	v_mul_f32_e32 v28, 0xbe11bafb, v49
	v_add_f32_e32 v8, v8, v26
	v_mov_b32_e32 v22, v24
	v_add_f32_e32 v23, v23, v29
	v_mov_b32_e32 v25, v27
	v_mov_b32_e32 v26, v28
	;; [unrolled: 1-line block ×3, first 2 shown]
	v_fmac_f32_e32 v20, 0x3f4178ce, v50
	v_fmac_f32_e32 v21, 0x3ed4b147, v48
	;; [unrolled: 1-line block ×6, first 2 shown]
	v_fma_f32 v27, v48, s6, -v27
	v_fmac_f32_e32 v28, 0xbf7d64f0, v50
	v_lshlrev_b32_sdwa v12, v29, v12 dst_sel:DWORD dst_unused:UNUSED_PAD src0_sel:DWORD src1_sel:BYTE_0
	v_add_f32_e32 v20, v20, v31
	v_add_f32_e32 v21, v21, v40
	;; [unrolled: 1-line block ×8, first 2 shown]
	v_add3_u32 v3, 0, v3, v12
	ds_write2_b64 v3, v[13:14], v[15:16] offset1:13
	ds_write2_b64 v3, v[17:18], v[19:20] offset0:26 offset1:39
	ds_write2_b64 v3, v[21:22], v[25:26] offset0:52 offset1:65
	ds_write2_b64 v3, v[27:28], v[23:24] offset0:78 offset1:91
	ds_write2_b64 v3, v[8:9], v[10:11] offset0:104 offset1:117
	ds_write_b64 v3, v[4:5] offset:1040
	s_waitcnt lgkmcnt(0)
	s_barrier
	ds_read2_b64 v[16:19], v38 offset1:143
	ds_read2_b64 v[28:31], v30 offset0:30 offset1:173
	ds_read2_b64 v[24:27], v39 offset0:60 offset1:203
	;; [unrolled: 1-line block ×3, first 2 shown]
                                        ; implicit-def: $vgpr13
	s_and_saveexec_b64 s[4:5], vcc
	s_cbranch_execz .LBB0_17
; %bb.16:
	v_add_u32_e32 v0, 0x1400, v38
	v_add_u32_e32 v12, 0x1c00, v38
	ds_read2_b64 v[8:11], v38 offset0:104 offset1:247
	ds_read2_b64 v[4:7], v2 offset0:6 offset1:149
	;; [unrolled: 1-line block ×4, first 2 shown]
.LBB0_17:
	s_or_b64 exec, exec, s[4:5]
	v_mul_u32_u24_e32 v37, 7, v36
	v_lshlrev_b32_e32 v37, 3, v37
	global_load_dwordx4 v[39:42], v37, s[12:13] offset:1040
	global_load_dwordx4 v[43:46], v37, s[12:13] offset:1056
	;; [unrolled: 1-line block ×3, first 2 shown]
	global_load_dwordx2 v[51:52], v37, s[12:13] offset:1088
	s_waitcnt vmcnt(0) lgkmcnt(0)
	s_barrier
	v_mul_f32_e32 v37, v40, v19
	v_mul_f32_e32 v40, v40, v18
	;; [unrolled: 1-line block ×14, first 2 shown]
	v_fmac_f32_e32 v37, v39, v18
	v_fma_f32 v18, v39, v19, -v40
	v_fmac_f32_e32 v53, v41, v28
	v_fma_f32 v19, v41, v29, -v42
	;; [unrolled: 2-line block ×7, first 2 shown]
	v_sub_f32_e32 v22, v16, v55
	v_sub_f32_e32 v23, v17, v24
	v_sub_f32_e32 v24, v53, v57
	v_sub_f32_e32 v20, v19, v20
	v_sub_f32_e32 v26, v37, v56
	v_sub_f32_e32 v25, v18, v25
	v_sub_f32_e32 v27, v54, v58
	v_sub_f32_e32 v21, v28, v21
	v_fma_f32 v30, v17, 2.0, -v23
	v_fma_f32 v17, v19, 2.0, -v20
	;; [unrolled: 1-line block ×6, first 2 shown]
	v_add_f32_e32 v37, v22, v20
	v_sub_f32_e32 v39, v23, v24
	v_fma_f32 v29, v16, 2.0, -v22
	v_fma_f32 v16, v53, 2.0, -v24
	v_add_f32_e32 v40, v26, v21
	v_sub_f32_e32 v27, v25, v27
	v_fma_f32 v42, v22, 2.0, -v37
	v_fma_f32 v43, v23, 2.0, -v39
	v_sub_f32_e32 v21, v19, v31
	v_sub_f32_e32 v20, v18, v28
	;; [unrolled: 1-line block ×4, first 2 shown]
	v_fma_f32 v28, v26, 2.0, -v40
	v_fma_f32 v31, v25, 2.0, -v27
	;; [unrolled: 1-line block ×4, first 2 shown]
	v_mov_b32_e32 v18, v42
	v_mov_b32_e32 v19, v43
	;; [unrolled: 1-line block ×4, first 2 shown]
	v_fma_f32 v26, v29, 2.0, -v24
	v_fma_f32 v29, v30, 2.0, -v41
	v_fmac_f32_e32 v18, 0xbf3504f3, v28
	v_fmac_f32_e32 v19, 0xbf3504f3, v31
	;; [unrolled: 1-line block ×4, first 2 shown]
	v_sub_f32_e32 v22, v26, v22
	v_sub_f32_e32 v23, v29, v23
	v_fmac_f32_e32 v18, 0x3f3504f3, v31
	v_fmac_f32_e32 v19, 0xbf3504f3, v28
	v_add_f32_e32 v20, v24, v20
	v_sub_f32_e32 v21, v41, v21
	v_fmac_f32_e32 v16, 0x3f3504f3, v27
	v_fmac_f32_e32 v17, 0xbf3504f3, v40
	v_fma_f32 v26, v26, 2.0, -v22
	v_fma_f32 v27, v29, 2.0, -v23
	;; [unrolled: 1-line block ×8, first 2 shown]
	ds_write2_b64 v38, v[26:27], v[30:31] offset1:143
	v_add_u32_e32 v26, 0x800, v38
	ds_write2_b64 v26, v[24:25], v[28:29] offset0:30 offset1:173
	v_add_u32_e32 v24, 0x1000, v38
	ds_write2_b64 v24, v[22:23], v[18:19] offset0:60 offset1:203
	;; [unrolled: 2-line block ×3, first 2 shown]
	s_and_saveexec_b64 s[4:5], vcc
	s_cbranch_execz .LBB0_19
; %bb.18:
	v_add_u32_e32 v16, 0x68, v36
	v_subrev_u32_e32 v17, 39, v36
	v_cndmask_b32_e32 v16, v17, v16, vcc
	v_mul_i32_i24_e32 v16, 7, v16
	v_mov_b32_e32 v17, 0
	v_lshlrev_b64 v[16:17], 3, v[16:17]
	v_mov_b32_e32 v18, s13
	v_add_co_u32_e32 v28, vcc, s12, v16
	v_addc_co_u32_e32 v29, vcc, v18, v17, vcc
	global_load_dwordx4 v[16:19], v[28:29], off offset:1056
	global_load_dwordx4 v[20:23], v[28:29], off offset:1040
	;; [unrolled: 1-line block ×3, first 2 shown]
	global_load_dwordx2 v[30:31], v[28:29], off offset:1088
	s_waitcnt vmcnt(3)
	v_mul_f32_e32 v28, v0, v19
	s_waitcnt vmcnt(2)
	v_mul_f32_e32 v29, v5, v23
	;; [unrolled: 2-line block ×3, first 2 shown]
	v_mul_f32_e32 v40, v2, v25
	v_mul_f32_e32 v25, v3, v25
	;; [unrolled: 1-line block ×7, first 2 shown]
	s_waitcnt vmcnt(0)
	v_mul_f32_e32 v42, v15, v31
	v_mul_f32_e32 v17, v6, v17
	;; [unrolled: 1-line block ×4, first 2 shown]
	v_fmac_f32_e32 v25, v2, v24
	v_fma_f32 v2, v5, v22, -v23
	v_fma_f32 v5, v13, v26, -v27
	v_fmac_f32_e32 v19, v0, v18
	v_fmac_f32_e32 v29, v4, v22
	;; [unrolled: 1-line block ×3, first 2 shown]
	v_fma_f32 v4, v11, v20, -v39
	v_fma_f32 v3, v3, v24, -v40
	v_fmac_f32_e32 v41, v6, v16
	v_fma_f32 v6, v7, v16, -v17
	v_fma_f32 v7, v15, v30, -v31
	v_fmac_f32_e32 v21, v10, v20
	v_sub_f32_e32 v5, v2, v5
	v_sub_f32_e32 v12, v8, v19
	v_fma_f32 v1, v1, v18, -v28
	v_fmac_f32_e32 v42, v14, v30
	v_sub_f32_e32 v3, v4, v3
	v_sub_f32_e32 v7, v6, v7
	;; [unrolled: 1-line block ×3, first 2 shown]
	v_add_f32_e32 v16, v12, v5
	v_sub_f32_e32 v10, v9, v1
	v_sub_f32_e32 v0, v29, v37
	;; [unrolled: 1-line block ×3, first 2 shown]
	v_add_f32_e32 v15, v11, v7
	v_fma_f32 v8, v8, 2.0, -v12
	v_fma_f32 v19, v4, 2.0, -v3
	;; [unrolled: 1-line block ×4, first 2 shown]
	v_sub_f32_e32 v13, v10, v0
	v_sub_f32_e32 v14, v3, v1
	v_sub_f32_e32 v7, v19, v4
	v_fma_f32 v23, v11, 2.0, -v15
	v_mov_b32_e32 v4, v12
	v_fma_f32 v9, v9, 2.0, -v10
	v_fma_f32 v2, v2, 2.0, -v5
	;; [unrolled: 1-line block ×5, first 2 shown]
	v_mov_b32_e32 v0, v16
	v_fma_f32 v21, v10, 2.0, -v13
	v_fma_f32 v22, v3, 2.0, -v14
	v_fmac_f32_e32 v4, 0xbf3504f3, v23
	v_mov_b32_e32 v1, v13
	v_sub_f32_e32 v6, v9, v2
	v_sub_f32_e32 v20, v17, v5
	;; [unrolled: 1-line block ×3, first 2 shown]
	v_fmac_f32_e32 v0, 0x3f3504f3, v15
	v_mov_b32_e32 v5, v21
	v_fmac_f32_e32 v4, 0x3f3504f3, v22
	v_fmac_f32_e32 v1, 0x3f3504f3, v14
	v_fma_f32 v24, v9, 2.0, -v6
	v_fma_f32 v9, v19, 2.0, -v7
	v_fmac_f32_e32 v0, 0x3f3504f3, v14
	v_fmac_f32_e32 v5, 0xbf3504f3, v22
	v_fma_f32 v14, v12, 2.0, -v4
	v_fma_f32 v12, v8, 2.0, -v18
	v_fma_f32 v8, v17, 2.0, -v20
	v_fmac_f32_e32 v1, 0xbf3504f3, v15
	v_sub_f32_e32 v9, v24, v9
	v_fmac_f32_e32 v5, 0xbf3504f3, v23
	v_sub_f32_e32 v8, v12, v8
	v_sub_f32_e32 v3, v6, v20
	v_add_f32_e32 v2, v18, v7
	v_fma_f32 v11, v13, 2.0, -v1
	v_fma_f32 v13, v24, 2.0, -v9
	;; [unrolled: 1-line block ×7, first 2 shown]
	ds_write2_b64 v38, v[12:13], v[14:15] offset0:104 offset1:247
	v_add_u32_e32 v12, 0xc00, v38
	ds_write2_b64 v12, v[6:7], v[10:11] offset0:6 offset1:149
	v_add_u32_e32 v6, 0x1400, v38
	;; [unrolled: 2-line block ×3, first 2 shown]
	ds_write2_b64 v4, v[2:3], v[0:1] offset0:66 offset1:209
.LBB0_19:
	s_or_b64 exec, exec, s[4:5]
	s_waitcnt lgkmcnt(0)
	s_barrier
	ds_read_b64 v[0:1], v38
	s_add_u32 s6, s12, 0x2358
	v_lshlrev_b32_e32 v2, 3, v36
	s_addc_u32 s7, s13, 0
	v_sub_u32_e32 v4, 0, v2
	v_cmp_ne_u32_e32 vcc, 0, v36
                                        ; implicit-def: $vgpr6
                                        ; implicit-def: $vgpr5
                                        ; implicit-def: $vgpr2_vgpr3
	s_and_saveexec_b64 s[4:5], vcc
	s_xor_b64 s[4:5], exec, s[4:5]
	s_cbranch_execz .LBB0_21
; %bb.20:
	v_mov_b32_e32 v37, 0
	v_lshlrev_b64 v[2:3], 3, v[36:37]
	v_mov_b32_e32 v5, s7
	v_add_co_u32_e32 v2, vcc, s6, v2
	v_addc_co_u32_e32 v3, vcc, v5, v3, vcc
	global_load_dwordx2 v[2:3], v[2:3], off
	ds_read_b64 v[5:6], v4 offset:9152
	s_waitcnt lgkmcnt(0)
	v_add_f32_e32 v7, v5, v0
	v_add_f32_e32 v8, v6, v1
	v_sub_f32_e32 v0, v0, v5
	v_sub_f32_e32 v1, v1, v6
	v_mul_f32_e32 v6, 0.5, v8
	v_mul_f32_e32 v0, 0.5, v0
	;; [unrolled: 1-line block ×3, first 2 shown]
	s_waitcnt vmcnt(0)
	v_mul_f32_e32 v8, v3, v0
	v_fma_f32 v9, v6, v3, v1
	v_fma_f32 v1, v6, v3, -v1
	v_fma_f32 v5, 0.5, v7, v8
	v_fma_f32 v3, -v2, v0, v9
	v_fma_f32 v7, v7, 0.5, -v8
	v_fma_f32 v0, -v2, v0, v1
	v_fmac_f32_e32 v5, v2, v6
	ds_write_b32 v38, v3 offset:4
	v_fma_f32 v6, -v2, v6, v7
	v_mov_b32_e32 v2, v36
	ds_write_b32 v4, v0 offset:9156
	v_mov_b32_e32 v3, v37
                                        ; implicit-def: $vgpr0_vgpr1
.LBB0_21:
	s_andn2_saveexec_b64 s[4:5], s[4:5]
	s_cbranch_execz .LBB0_23
; %bb.22:
	v_mov_b32_e32 v7, 0
	ds_write_b32 v38, v7 offset:4
	ds_write_b32 v4, v7 offset:9156
	ds_read_b32 v2, v7 offset:4580
	s_waitcnt lgkmcnt(3)
	v_add_f32_e32 v5, v0, v1
	v_sub_f32_e32 v6, v0, v1
	s_waitcnt lgkmcnt(0)
	v_xor_b32_e32 v0, 0x80000000, v2
	v_mov_b32_e32 v2, 0
	v_mov_b32_e32 v3, 0
	ds_write_b32 v7, v0 offset:4580
.LBB0_23:
	s_or_b64 exec, exec, s[4:5]
	s_waitcnt lgkmcnt(0)
	v_lshlrev_b64 v[0:1], 3, v[2:3]
	v_mov_b32_e32 v2, s7
	v_add_co_u32_e32 v0, vcc, s6, v0
	v_addc_co_u32_e32 v1, vcc, v2, v1, vcc
	global_load_dwordx2 v[2:3], v[0:1], off offset:832
	global_load_dwordx2 v[7:8], v[0:1], off offset:1664
	;; [unrolled: 1-line block ×3, first 2 shown]
	ds_write_b32 v38, v5
	ds_write_b32 v4, v6 offset:9152
	ds_read_b64 v[5:6], v38 offset:832
	ds_read_b64 v[11:12], v4 offset:8320
	global_load_dwordx2 v[13:14], v[0:1], off offset:3328
	v_cmp_gt_u32_e32 vcc, 52, v36
	s_waitcnt lgkmcnt(0)
	v_add_f32_e32 v15, v5, v11
	v_sub_f32_e32 v5, v5, v11
	v_add_f32_e32 v16, v6, v12
	v_sub_f32_e32 v6, v6, v12
	v_mul_f32_e32 v12, 0.5, v5
	v_mul_f32_e32 v11, 0.5, v16
	v_mul_f32_e32 v5, 0.5, v6
	s_waitcnt vmcnt(3)
	v_mul_f32_e32 v16, v3, v12
	v_fma_f32 v6, v11, v3, v5
	v_fma_f32 v3, v11, v3, -v5
	v_fma_f32 v5, 0.5, v15, v16
	v_fma_f32 v6, -v2, v12, v6
	v_fma_f32 v15, v15, 0.5, -v16
	v_fmac_f32_e32 v5, v2, v11
	v_fma_f32 v3, -v2, v12, v3
	v_fma_f32 v2, -v2, v11, v15
	ds_write_b64 v38, v[5:6] offset:832
	ds_write_b64 v4, v[2:3] offset:8320
	ds_read_b64 v[2:3], v38 offset:1664
	ds_read_b64 v[5:6], v4 offset:7488
	s_waitcnt lgkmcnt(0)
	v_add_f32_e32 v11, v2, v5
	v_sub_f32_e32 v2, v2, v5
	v_add_f32_e32 v12, v3, v6
	v_sub_f32_e32 v3, v3, v6
	v_mul_f32_e32 v6, 0.5, v2
	v_mul_f32_e32 v5, 0.5, v12
	v_mul_f32_e32 v2, 0.5, v3
	s_waitcnt vmcnt(2)
	v_mul_f32_e32 v12, v8, v6
	v_fma_f32 v3, v5, v8, v2
	v_fma_f32 v8, v5, v8, -v2
	v_fma_f32 v2, 0.5, v11, v12
	v_fma_f32 v3, -v7, v6, v3
	v_fma_f32 v11, v11, 0.5, -v12
	v_fmac_f32_e32 v2, v7, v5
	v_fma_f32 v6, -v7, v6, v8
	v_fma_f32 v5, -v7, v5, v11
	ds_write_b64 v38, v[2:3] offset:1664
	ds_write_b64 v4, v[5:6] offset:7488
	ds_read_b64 v[2:3], v38 offset:2496
	ds_read_b64 v[5:6], v4 offset:6656
	;; [unrolled: 22-line block ×3, first 2 shown]
	s_waitcnt lgkmcnt(0)
	v_add_f32_e32 v7, v2, v5
	v_sub_f32_e32 v2, v2, v5
	v_add_f32_e32 v8, v3, v6
	v_sub_f32_e32 v3, v3, v6
	v_mul_f32_e32 v6, 0.5, v2
	v_mul_f32_e32 v5, 0.5, v8
	;; [unrolled: 1-line block ×3, first 2 shown]
	s_waitcnt vmcnt(0)
	v_mul_f32_e32 v8, v14, v6
	v_fma_f32 v3, v5, v14, v2
	v_fma_f32 v9, v5, v14, -v2
	v_fma_f32 v2, 0.5, v7, v8
	v_fma_f32 v3, -v13, v6, v3
	v_fma_f32 v7, v7, 0.5, -v8
	v_fmac_f32_e32 v2, v13, v5
	v_fma_f32 v6, -v13, v6, v9
	v_fma_f32 v5, -v13, v5, v7
	ds_write_b64 v38, v[2:3] offset:3328
	ds_write_b64 v4, v[5:6] offset:5824
	s_and_saveexec_b64 s[4:5], vcc
	s_cbranch_execz .LBB0_25
; %bb.24:
	v_add_co_u32_e32 v0, vcc, 0x1000, v0
	v_addc_co_u32_e32 v1, vcc, 0, v1, vcc
	global_load_dwordx2 v[0:1], v[0:1], off offset:64
	ds_read_b64 v[2:3], v38 offset:4160
	ds_read_b64 v[5:6], v4 offset:4992
	s_waitcnt lgkmcnt(0)
	v_add_f32_e32 v7, v2, v5
	v_sub_f32_e32 v2, v2, v5
	v_add_f32_e32 v8, v3, v6
	v_sub_f32_e32 v3, v3, v6
	v_mul_f32_e32 v6, 0.5, v2
	v_mul_f32_e32 v5, 0.5, v8
	;; [unrolled: 1-line block ×3, first 2 shown]
	s_waitcnt vmcnt(0)
	v_mul_f32_e32 v3, v1, v6
	v_fma_f32 v8, v5, v1, v2
	v_fma_f32 v9, v5, v1, -v2
	v_fma_f32 v1, 0.5, v7, v3
	v_fma_f32 v2, -v0, v6, v8
	v_fma_f32 v3, v7, 0.5, -v3
	v_fmac_f32_e32 v1, v0, v5
	v_fma_f32 v6, -v0, v6, v9
	v_fma_f32 v5, -v0, v5, v3
	ds_write_b64 v38, v[1:2] offset:4160
	ds_write_b64 v4, v[5:6] offset:4992
.LBB0_25:
	s_or_b64 exec, exec, s[4:5]
	s_waitcnt lgkmcnt(0)
	s_barrier
	s_and_saveexec_b64 s[4:5], s[0:1]
	s_cbranch_execz .LBB0_28
; %bb.26:
	v_mul_lo_u32 v2, s3, v34
	v_mul_lo_u32 v3, s2, v35
	v_mad_u64_u32 v[0:1], s[0:1], s2, v34, 0
	v_mov_b32_e32 v6, s11
	v_lshl_add_u32 v8, v36, 3, 0
	v_add3_u32 v1, v1, v3, v2
	v_lshlrev_b64 v[0:1], 3, v[0:1]
	v_mov_b32_e32 v37, 0
	v_add_co_u32_e32 v0, vcc, s10, v0
	v_addc_co_u32_e32 v9, vcc, v6, v1, vcc
	v_lshlrev_b64 v[6:7], 3, v[32:33]
	ds_read2_b64 v[2:5], v8 offset1:104
	v_add_co_u32_e32 v1, vcc, v0, v6
	v_addc_co_u32_e32 v0, vcc, v9, v7, vcc
	v_lshlrev_b64 v[6:7], 3, v[36:37]
	s_movk_i32 s0, 0x67
	v_add_co_u32_e32 v6, vcc, v1, v6
	v_addc_co_u32_e32 v7, vcc, v0, v7, vcc
	s_waitcnt lgkmcnt(0)
	global_store_dwordx2 v[6:7], v[2:3], off
	v_add_u32_e32 v2, 0x68, v36
	v_mov_b32_e32 v3, v37
	v_lshlrev_b64 v[2:3], 3, v[2:3]
	v_add_u32_e32 v6, 0xd0, v36
	v_add_co_u32_e32 v2, vcc, v1, v2
	v_addc_co_u32_e32 v3, vcc, v0, v3, vcc
	global_store_dwordx2 v[2:3], v[4:5], off
	v_add_u32_e32 v2, 0x400, v8
	v_mov_b32_e32 v7, v37
	ds_read2_b64 v[2:5], v2 offset0:80 offset1:184
	v_lshlrev_b64 v[6:7], 3, v[6:7]
	v_add_co_u32_e32 v6, vcc, v1, v6
	v_addc_co_u32_e32 v7, vcc, v0, v7, vcc
	s_waitcnt lgkmcnt(0)
	global_store_dwordx2 v[6:7], v[2:3], off
	v_add_u32_e32 v2, 0x138, v36
	v_mov_b32_e32 v3, v37
	v_lshlrev_b64 v[2:3], 3, v[2:3]
	v_add_u32_e32 v6, 0x1a0, v36
	v_add_co_u32_e32 v2, vcc, v1, v2
	v_addc_co_u32_e32 v3, vcc, v0, v3, vcc
	global_store_dwordx2 v[2:3], v[4:5], off
	v_add_u32_e32 v2, 0xc00, v8
	v_mov_b32_e32 v7, v37
	ds_read2_b64 v[2:5], v2 offset0:32 offset1:136
	v_lshlrev_b64 v[6:7], 3, v[6:7]
	v_add_co_u32_e32 v6, vcc, v1, v6
	v_addc_co_u32_e32 v7, vcc, v0, v7, vcc
	s_waitcnt lgkmcnt(0)
	global_store_dwordx2 v[6:7], v[2:3], off
	v_add_u32_e32 v2, 0x208, v36
	v_mov_b32_e32 v3, v37
	v_lshlrev_b64 v[2:3], 3, v[2:3]
	v_add_u32_e32 v6, 0x270, v36
	v_add_co_u32_e32 v2, vcc, v1, v2
	v_addc_co_u32_e32 v3, vcc, v0, v3, vcc
	global_store_dwordx2 v[2:3], v[4:5], off
	v_add_u32_e32 v2, 0x1000, v8
	v_mov_b32_e32 v7, v37
	ds_read2_b64 v[2:5], v2 offset0:112 offset1:216
	v_lshlrev_b64 v[6:7], 3, v[6:7]
	v_add_co_u32_e32 v6, vcc, v1, v6
	v_addc_co_u32_e32 v7, vcc, v0, v7, vcc
	s_waitcnt lgkmcnt(0)
	global_store_dwordx2 v[6:7], v[2:3], off
	v_add_u32_e32 v2, 0x2d8, v36
	v_mov_b32_e32 v3, v37
	v_lshlrev_b64 v[2:3], 3, v[2:3]
	v_add_u32_e32 v6, 0x340, v36
	v_add_co_u32_e32 v2, vcc, v1, v2
	v_addc_co_u32_e32 v3, vcc, v0, v3, vcc
	global_store_dwordx2 v[2:3], v[4:5], off
	v_add_u32_e32 v2, 0x1800, v8
	v_mov_b32_e32 v7, v37
	ds_read2_b64 v[2:5], v2 offset0:64 offset1:168
	v_lshlrev_b64 v[6:7], 3, v[6:7]
	v_add_co_u32_e32 v6, vcc, v1, v6
	v_addc_co_u32_e32 v7, vcc, v0, v7, vcc
	s_waitcnt lgkmcnt(0)
	global_store_dwordx2 v[6:7], v[2:3], off
	v_add_u32_e32 v2, 0x3a8, v36
	v_mov_b32_e32 v3, v37
	v_lshlrev_b64 v[2:3], 3, v[2:3]
	v_add_co_u32_e32 v2, vcc, v1, v2
	v_addc_co_u32_e32 v3, vcc, v0, v3, vcc
	global_store_dwordx2 v[2:3], v[4:5], off
	v_add_u32_e32 v2, 0x410, v36
	v_mov_b32_e32 v3, v37
	ds_read_b64 v[4:5], v8 offset:8320
	v_lshlrev_b64 v[2:3], 3, v[2:3]
	v_add_co_u32_e32 v2, vcc, v1, v2
	v_addc_co_u32_e32 v3, vcc, v0, v3, vcc
	v_cmp_eq_u32_e32 vcc, s0, v36
	s_waitcnt lgkmcnt(0)
	global_store_dwordx2 v[2:3], v[4:5], off
	s_and_b64 exec, exec, vcc
	s_cbranch_execz .LBB0_28
; %bb.27:
	ds_read_b64 v[2:3], v37 offset:9152
	v_add_co_u32_e32 v4, vcc, 0x2000, v1
	v_addc_co_u32_e32 v5, vcc, 0, v0, vcc
	s_waitcnt lgkmcnt(0)
	global_store_dwordx2 v[4:5], v[2:3], off offset:960
.LBB0_28:
	s_endpgm
	.section	.rodata,"a",@progbits
	.p2align	6, 0x0
	.amdhsa_kernel fft_rtc_back_len1144_factors_13_11_8_wgs_104_tpt_104_sp_op_CI_CI_unitstride_sbrr_R2C_dirReg
		.amdhsa_group_segment_fixed_size 0
		.amdhsa_private_segment_fixed_size 0
		.amdhsa_kernarg_size 104
		.amdhsa_user_sgpr_count 6
		.amdhsa_user_sgpr_private_segment_buffer 1
		.amdhsa_user_sgpr_dispatch_ptr 0
		.amdhsa_user_sgpr_queue_ptr 0
		.amdhsa_user_sgpr_kernarg_segment_ptr 1
		.amdhsa_user_sgpr_dispatch_id 0
		.amdhsa_user_sgpr_flat_scratch_init 0
		.amdhsa_user_sgpr_private_segment_size 0
		.amdhsa_uses_dynamic_stack 0
		.amdhsa_system_sgpr_private_segment_wavefront_offset 0
		.amdhsa_system_sgpr_workgroup_id_x 1
		.amdhsa_system_sgpr_workgroup_id_y 0
		.amdhsa_system_sgpr_workgroup_id_z 0
		.amdhsa_system_sgpr_workgroup_info 0
		.amdhsa_system_vgpr_workitem_id 0
		.amdhsa_next_free_vgpr 142
		.amdhsa_next_free_sgpr 28
		.amdhsa_reserve_vcc 1
		.amdhsa_reserve_flat_scratch 0
		.amdhsa_float_round_mode_32 0
		.amdhsa_float_round_mode_16_64 0
		.amdhsa_float_denorm_mode_32 3
		.amdhsa_float_denorm_mode_16_64 3
		.amdhsa_dx10_clamp 1
		.amdhsa_ieee_mode 1
		.amdhsa_fp16_overflow 0
		.amdhsa_exception_fp_ieee_invalid_op 0
		.amdhsa_exception_fp_denorm_src 0
		.amdhsa_exception_fp_ieee_div_zero 0
		.amdhsa_exception_fp_ieee_overflow 0
		.amdhsa_exception_fp_ieee_underflow 0
		.amdhsa_exception_fp_ieee_inexact 0
		.amdhsa_exception_int_div_zero 0
	.end_amdhsa_kernel
	.text
.Lfunc_end0:
	.size	fft_rtc_back_len1144_factors_13_11_8_wgs_104_tpt_104_sp_op_CI_CI_unitstride_sbrr_R2C_dirReg, .Lfunc_end0-fft_rtc_back_len1144_factors_13_11_8_wgs_104_tpt_104_sp_op_CI_CI_unitstride_sbrr_R2C_dirReg
                                        ; -- End function
	.section	.AMDGPU.csdata,"",@progbits
; Kernel info:
; codeLenInByte = 10032
; NumSgprs: 32
; NumVgprs: 142
; ScratchSize: 0
; MemoryBound: 0
; FloatMode: 240
; IeeeMode: 1
; LDSByteSize: 0 bytes/workgroup (compile time only)
; SGPRBlocks: 3
; VGPRBlocks: 35
; NumSGPRsForWavesPerEU: 32
; NumVGPRsForWavesPerEU: 142
; Occupancy: 1
; WaveLimiterHint : 1
; COMPUTE_PGM_RSRC2:SCRATCH_EN: 0
; COMPUTE_PGM_RSRC2:USER_SGPR: 6
; COMPUTE_PGM_RSRC2:TRAP_HANDLER: 0
; COMPUTE_PGM_RSRC2:TGID_X_EN: 1
; COMPUTE_PGM_RSRC2:TGID_Y_EN: 0
; COMPUTE_PGM_RSRC2:TGID_Z_EN: 0
; COMPUTE_PGM_RSRC2:TIDIG_COMP_CNT: 0
	.type	__hip_cuid_8ec76fc431262ed8,@object ; @__hip_cuid_8ec76fc431262ed8
	.section	.bss,"aw",@nobits
	.globl	__hip_cuid_8ec76fc431262ed8
__hip_cuid_8ec76fc431262ed8:
	.byte	0                               ; 0x0
	.size	__hip_cuid_8ec76fc431262ed8, 1

	.ident	"AMD clang version 19.0.0git (https://github.com/RadeonOpenCompute/llvm-project roc-6.4.0 25133 c7fe45cf4b819c5991fe208aaa96edf142730f1d)"
	.section	".note.GNU-stack","",@progbits
	.addrsig
	.addrsig_sym __hip_cuid_8ec76fc431262ed8
	.amdgpu_metadata
---
amdhsa.kernels:
  - .args:
      - .actual_access:  read_only
        .address_space:  global
        .offset:         0
        .size:           8
        .value_kind:     global_buffer
      - .offset:         8
        .size:           8
        .value_kind:     by_value
      - .actual_access:  read_only
        .address_space:  global
        .offset:         16
        .size:           8
        .value_kind:     global_buffer
      - .actual_access:  read_only
        .address_space:  global
        .offset:         24
        .size:           8
        .value_kind:     global_buffer
      - .actual_access:  read_only
        .address_space:  global
        .offset:         32
        .size:           8
        .value_kind:     global_buffer
      - .offset:         40
        .size:           8
        .value_kind:     by_value
      - .actual_access:  read_only
        .address_space:  global
        .offset:         48
        .size:           8
        .value_kind:     global_buffer
      - .actual_access:  read_only
        .address_space:  global
        .offset:         56
        .size:           8
        .value_kind:     global_buffer
      - .offset:         64
        .size:           4
        .value_kind:     by_value
      - .actual_access:  read_only
        .address_space:  global
        .offset:         72
        .size:           8
        .value_kind:     global_buffer
      - .actual_access:  read_only
        .address_space:  global
        .offset:         80
        .size:           8
        .value_kind:     global_buffer
      - .actual_access:  read_only
        .address_space:  global
        .offset:         88
        .size:           8
        .value_kind:     global_buffer
      - .actual_access:  write_only
        .address_space:  global
        .offset:         96
        .size:           8
        .value_kind:     global_buffer
    .group_segment_fixed_size: 0
    .kernarg_segment_align: 8
    .kernarg_segment_size: 104
    .language:       OpenCL C
    .language_version:
      - 2
      - 0
    .max_flat_workgroup_size: 104
    .name:           fft_rtc_back_len1144_factors_13_11_8_wgs_104_tpt_104_sp_op_CI_CI_unitstride_sbrr_R2C_dirReg
    .private_segment_fixed_size: 0
    .sgpr_count:     32
    .sgpr_spill_count: 0
    .symbol:         fft_rtc_back_len1144_factors_13_11_8_wgs_104_tpt_104_sp_op_CI_CI_unitstride_sbrr_R2C_dirReg.kd
    .uniform_work_group_size: 1
    .uses_dynamic_stack: false
    .vgpr_count:     142
    .vgpr_spill_count: 0
    .wavefront_size: 64
amdhsa.target:   amdgcn-amd-amdhsa--gfx906
amdhsa.version:
  - 1
  - 2
...

	.end_amdgpu_metadata
